;; amdgpu-corpus repo=ROCm/rocFFT kind=compiled arch=gfx906 opt=O3
	.text
	.amdgcn_target "amdgcn-amd-amdhsa--gfx906"
	.amdhsa_code_object_version 6
	.protected	fft_rtc_back_len88_factors_11_8_wgs_121_tpt_11_halfLds_half_ip_CI_unitstride_sbrr_C2R_dirReg ; -- Begin function fft_rtc_back_len88_factors_11_8_wgs_121_tpt_11_halfLds_half_ip_CI_unitstride_sbrr_C2R_dirReg
	.globl	fft_rtc_back_len88_factors_11_8_wgs_121_tpt_11_halfLds_half_ip_CI_unitstride_sbrr_C2R_dirReg
	.p2align	8
	.type	fft_rtc_back_len88_factors_11_8_wgs_121_tpt_11_halfLds_half_ip_CI_unitstride_sbrr_C2R_dirReg,@function
fft_rtc_back_len88_factors_11_8_wgs_121_tpt_11_halfLds_half_ip_CI_unitstride_sbrr_C2R_dirReg: ; @fft_rtc_back_len88_factors_11_8_wgs_121_tpt_11_halfLds_half_ip_CI_unitstride_sbrr_C2R_dirReg
; %bb.0:
	s_load_dwordx2 s[2:3], s[4:5], 0x50
	s_load_dwordx4 s[8:11], s[4:5], 0x0
	s_load_dwordx2 s[12:13], s[4:5], 0x18
	v_mul_u32_u24_e32 v1, 0x1746, v0
	v_lshrrev_b32_e32 v1, 16, v1
	v_mad_u64_u32 v[1:2], s[0:1], s6, 11, v[1:2]
	v_mov_b32_e32 v5, 0
	s_waitcnt lgkmcnt(0)
	v_cmp_lt_u64_e64 s[0:1], s[10:11], 2
	v_mov_b32_e32 v2, v5
	v_mov_b32_e32 v3, 0
	;; [unrolled: 1-line block ×3, first 2 shown]
	s_and_b64 vcc, exec, s[0:1]
	v_mov_b32_e32 v4, 0
	v_mov_b32_e32 v9, v1
	s_cbranch_vccnz .LBB0_8
; %bb.1:
	s_load_dwordx2 s[0:1], s[4:5], 0x10
	s_add_u32 s6, s12, 8
	s_addc_u32 s7, s13, 0
	v_mov_b32_e32 v3, 0
	v_mov_b32_e32 v8, v2
	s_waitcnt lgkmcnt(0)
	s_add_u32 s16, s0, 8
	s_mov_b64 s[14:15], 1
	v_mov_b32_e32 v4, 0
	s_addc_u32 s17, s1, 0
	v_mov_b32_e32 v7, v1
.LBB0_2:                                ; =>This Inner Loop Header: Depth=1
	s_load_dwordx2 s[18:19], s[16:17], 0x0
                                        ; implicit-def: $vgpr9_vgpr10
	s_waitcnt lgkmcnt(0)
	v_or_b32_e32 v6, s19, v8
	v_cmp_ne_u64_e32 vcc, 0, v[5:6]
	s_and_saveexec_b64 s[0:1], vcc
	s_xor_b64 s[20:21], exec, s[0:1]
	s_cbranch_execz .LBB0_4
; %bb.3:                                ;   in Loop: Header=BB0_2 Depth=1
	v_cvt_f32_u32_e32 v2, s18
	v_cvt_f32_u32_e32 v6, s19
	s_sub_u32 s0, 0, s18
	s_subb_u32 s1, 0, s19
	v_mac_f32_e32 v2, 0x4f800000, v6
	v_rcp_f32_e32 v2, v2
	v_mul_f32_e32 v2, 0x5f7ffffc, v2
	v_mul_f32_e32 v6, 0x2f800000, v2
	v_trunc_f32_e32 v6, v6
	v_mac_f32_e32 v2, 0xcf800000, v6
	v_cvt_u32_f32_e32 v6, v6
	v_cvt_u32_f32_e32 v2, v2
	v_mul_lo_u32 v9, s0, v6
	v_mul_hi_u32 v10, s0, v2
	v_mul_lo_u32 v12, s1, v2
	v_mul_lo_u32 v11, s0, v2
	v_add_u32_e32 v9, v10, v9
	v_add_u32_e32 v9, v9, v12
	v_mul_hi_u32 v10, v2, v11
	v_mul_lo_u32 v12, v2, v9
	v_mul_hi_u32 v14, v2, v9
	v_mul_hi_u32 v13, v6, v11
	v_mul_lo_u32 v11, v6, v11
	v_mul_hi_u32 v15, v6, v9
	v_add_co_u32_e32 v10, vcc, v10, v12
	v_addc_co_u32_e32 v12, vcc, 0, v14, vcc
	v_mul_lo_u32 v9, v6, v9
	v_add_co_u32_e32 v10, vcc, v10, v11
	v_addc_co_u32_e32 v10, vcc, v12, v13, vcc
	v_addc_co_u32_e32 v11, vcc, 0, v15, vcc
	v_add_co_u32_e32 v9, vcc, v10, v9
	v_addc_co_u32_e32 v10, vcc, 0, v11, vcc
	v_add_co_u32_e32 v2, vcc, v2, v9
	v_addc_co_u32_e32 v6, vcc, v6, v10, vcc
	v_mul_lo_u32 v9, s0, v6
	v_mul_hi_u32 v10, s0, v2
	v_mul_lo_u32 v11, s1, v2
	v_mul_lo_u32 v12, s0, v2
	v_add_u32_e32 v9, v10, v9
	v_add_u32_e32 v9, v9, v11
	v_mul_lo_u32 v13, v2, v9
	v_mul_hi_u32 v14, v2, v12
	v_mul_hi_u32 v15, v2, v9
	;; [unrolled: 1-line block ×3, first 2 shown]
	v_mul_lo_u32 v12, v6, v12
	v_mul_hi_u32 v10, v6, v9
	v_add_co_u32_e32 v13, vcc, v14, v13
	v_addc_co_u32_e32 v14, vcc, 0, v15, vcc
	v_mul_lo_u32 v9, v6, v9
	v_add_co_u32_e32 v12, vcc, v13, v12
	v_addc_co_u32_e32 v11, vcc, v14, v11, vcc
	v_addc_co_u32_e32 v10, vcc, 0, v10, vcc
	v_add_co_u32_e32 v9, vcc, v11, v9
	v_addc_co_u32_e32 v10, vcc, 0, v10, vcc
	v_add_co_u32_e32 v2, vcc, v2, v9
	v_addc_co_u32_e32 v6, vcc, v6, v10, vcc
	v_mad_u64_u32 v[9:10], s[0:1], v7, v6, 0
	v_mul_hi_u32 v11, v7, v2
	v_add_co_u32_e32 v13, vcc, v11, v9
	v_addc_co_u32_e32 v14, vcc, 0, v10, vcc
	v_mad_u64_u32 v[9:10], s[0:1], v8, v2, 0
	v_mad_u64_u32 v[11:12], s[0:1], v8, v6, 0
	v_add_co_u32_e32 v2, vcc, v13, v9
	v_addc_co_u32_e32 v2, vcc, v14, v10, vcc
	v_addc_co_u32_e32 v6, vcc, 0, v12, vcc
	v_add_co_u32_e32 v2, vcc, v2, v11
	v_addc_co_u32_e32 v6, vcc, 0, v6, vcc
	v_mul_lo_u32 v11, s19, v2
	v_mul_lo_u32 v12, s18, v6
	v_mad_u64_u32 v[9:10], s[0:1], s18, v2, 0
	v_add3_u32 v10, v10, v12, v11
	v_sub_u32_e32 v11, v8, v10
	v_mov_b32_e32 v12, s19
	v_sub_co_u32_e32 v9, vcc, v7, v9
	v_subb_co_u32_e64 v11, s[0:1], v11, v12, vcc
	v_subrev_co_u32_e64 v12, s[0:1], s18, v9
	v_subbrev_co_u32_e64 v11, s[0:1], 0, v11, s[0:1]
	v_cmp_le_u32_e64 s[0:1], s19, v11
	v_cndmask_b32_e64 v13, 0, -1, s[0:1]
	v_cmp_le_u32_e64 s[0:1], s18, v12
	v_cndmask_b32_e64 v12, 0, -1, s[0:1]
	v_cmp_eq_u32_e64 s[0:1], s19, v11
	v_cndmask_b32_e64 v11, v13, v12, s[0:1]
	v_add_co_u32_e64 v12, s[0:1], 2, v2
	v_addc_co_u32_e64 v13, s[0:1], 0, v6, s[0:1]
	v_add_co_u32_e64 v14, s[0:1], 1, v2
	v_addc_co_u32_e64 v15, s[0:1], 0, v6, s[0:1]
	v_subb_co_u32_e32 v10, vcc, v8, v10, vcc
	v_cmp_ne_u32_e64 s[0:1], 0, v11
	v_cmp_le_u32_e32 vcc, s19, v10
	v_cndmask_b32_e64 v11, v15, v13, s[0:1]
	v_cndmask_b32_e64 v13, 0, -1, vcc
	v_cmp_le_u32_e32 vcc, s18, v9
	v_cndmask_b32_e64 v9, 0, -1, vcc
	v_cmp_eq_u32_e32 vcc, s19, v10
	v_cndmask_b32_e32 v9, v13, v9, vcc
	v_cmp_ne_u32_e32 vcc, 0, v9
	v_cndmask_b32_e32 v10, v6, v11, vcc
	v_cndmask_b32_e64 v6, v14, v12, s[0:1]
	v_cndmask_b32_e32 v9, v2, v6, vcc
.LBB0_4:                                ;   in Loop: Header=BB0_2 Depth=1
	s_andn2_saveexec_b64 s[0:1], s[20:21]
	s_cbranch_execz .LBB0_6
; %bb.5:                                ;   in Loop: Header=BB0_2 Depth=1
	v_cvt_f32_u32_e32 v2, s18
	s_sub_i32 s20, 0, s18
	v_rcp_iflag_f32_e32 v2, v2
	v_mul_f32_e32 v2, 0x4f7ffffe, v2
	v_cvt_u32_f32_e32 v2, v2
	v_mul_lo_u32 v6, s20, v2
	v_mul_hi_u32 v6, v2, v6
	v_add_u32_e32 v2, v2, v6
	v_mul_hi_u32 v2, v7, v2
	v_mul_lo_u32 v6, v2, s18
	v_add_u32_e32 v9, 1, v2
	v_sub_u32_e32 v6, v7, v6
	v_subrev_u32_e32 v10, s18, v6
	v_cmp_le_u32_e32 vcc, s18, v6
	v_cndmask_b32_e32 v6, v6, v10, vcc
	v_cndmask_b32_e32 v2, v2, v9, vcc
	v_add_u32_e32 v9, 1, v2
	v_cmp_le_u32_e32 vcc, s18, v6
	v_cndmask_b32_e32 v9, v2, v9, vcc
	v_mov_b32_e32 v10, v5
.LBB0_6:                                ;   in Loop: Header=BB0_2 Depth=1
	s_or_b64 exec, exec, s[0:1]
	v_mul_lo_u32 v2, v10, s18
	v_mul_lo_u32 v6, v9, s19
	v_mad_u64_u32 v[11:12], s[0:1], v9, s18, 0
	s_load_dwordx2 s[0:1], s[6:7], 0x0
	s_add_u32 s14, s14, 1
	v_add3_u32 v2, v12, v6, v2
	v_sub_co_u32_e32 v6, vcc, v7, v11
	v_subb_co_u32_e32 v2, vcc, v8, v2, vcc
	s_waitcnt lgkmcnt(0)
	v_mul_lo_u32 v2, s0, v2
	v_mul_lo_u32 v7, s1, v6
	v_mad_u64_u32 v[3:4], s[0:1], s0, v6, v[3:4]
	s_addc_u32 s15, s15, 0
	s_add_u32 s6, s6, 8
	v_add3_u32 v4, v7, v4, v2
	v_mov_b32_e32 v6, s10
	v_mov_b32_e32 v7, s11
	s_addc_u32 s7, s7, 0
	v_cmp_ge_u64_e32 vcc, s[14:15], v[6:7]
	s_add_u32 s16, s16, 8
	s_addc_u32 s17, s17, 0
	s_cbranch_vccnz .LBB0_8
; %bb.7:                                ;   in Loop: Header=BB0_2 Depth=1
	v_mov_b32_e32 v7, v9
	v_mov_b32_e32 v8, v10
	s_branch .LBB0_2
.LBB0_8:
	s_lshl_b64 s[0:1], s[10:11], 3
	s_add_u32 s0, s12, s0
	s_addc_u32 s1, s13, s1
	s_load_dwordx2 s[0:1], s[0:1], 0x0
	s_mov_b32 s6, 0xba2e8ba3
	v_mul_hi_u32 v5, v1, s6
	s_waitcnt lgkmcnt(0)
	v_mul_lo_u32 v6, s0, v10
	v_mul_lo_u32 v7, s1, v9
	v_mad_u64_u32 v[2:3], s[0:1], s0, v9, v[3:4]
	v_lshrrev_b32_e32 v4, 3, v5
	s_load_dwordx2 s[0:1], s[4:5], 0x20
	v_mul_lo_u32 v4, v4, 11
	s_mov_b32 s4, 0x1745d175
	v_mul_hi_u32 v5, v0, s4
	v_add3_u32 v3, v7, v3, v6
	v_sub_u32_e32 v1, v1, v4
	v_mul_u32_u24_e32 v6, 0x59, v1
	s_waitcnt lgkmcnt(0)
	v_cmp_gt_u64_e32 vcc, s[0:1], v[9:10]
	v_mul_u32_u24_e32 v1, 11, v5
	v_lshlrev_b64 v[2:3], 2, v[2:3]
	v_sub_u32_e32 v0, v0, v1
	v_lshlrev_b32_e32 v17, 2, v6
	s_and_saveexec_b64 s[4:5], vcc
	s_cbranch_execz .LBB0_12
; %bb.9:
	v_mov_b32_e32 v1, 0
	v_mov_b32_e32 v5, s3
	v_add_co_u32_e64 v4, s[0:1], s2, v2
	v_lshlrev_b64 v[7:8], 2, v[0:1]
	v_addc_co_u32_e64 v5, s[0:1], v5, v3, s[0:1]
	v_add_co_u32_e64 v7, s[0:1], v4, v7
	v_addc_co_u32_e64 v8, s[0:1], v5, v8, s[0:1]
	global_load_dword v9, v[7:8], off
	global_load_dword v10, v[7:8], off offset:44
	global_load_dword v11, v[7:8], off offset:88
	;; [unrolled: 1-line block ×7, first 2 shown]
	v_lshlrev_b32_e32 v1, 2, v0
	v_add3_u32 v1, 0, v17, v1
	v_cmp_eq_u32_e64 s[0:1], 10, v0
	s_waitcnt vmcnt(6)
	ds_write2_b32 v1, v9, v10 offset1:11
	s_waitcnt vmcnt(4)
	ds_write2_b32 v1, v11, v12 offset0:22 offset1:33
	s_waitcnt vmcnt(2)
	ds_write2_b32 v1, v13, v14 offset0:44 offset1:55
	;; [unrolled: 2-line block ×3, first 2 shown]
	s_and_saveexec_b64 s[6:7], s[0:1]
	s_cbranch_execz .LBB0_11
; %bb.10:
	global_load_dword v0, v[4:5], off offset:352
	s_waitcnt vmcnt(0)
	ds_write_b32 v1, v0 offset:312
	v_mov_b32_e32 v0, 10
.LBB0_11:
	s_or_b64 exec, exec, s[6:7]
.LBB0_12:
	s_or_b64 exec, exec, s[4:5]
	v_lshl_add_u32 v14, v6, 2, 0
	v_lshlrev_b32_e32 v1, 2, v0
	v_add_u32_e32 v15, v14, v1
	s_waitcnt lgkmcnt(0)
	s_barrier
	v_sub_u32_e32 v7, v14, v1
	ds_read_u16 v10, v15
	ds_read_u16 v11, v7 offset:352
	v_cmp_ne_u32_e64 s[0:1], 0, v0
                                        ; implicit-def: $vgpr4_vgpr5
	s_waitcnt lgkmcnt(0)
	v_add_f16_e32 v8, v11, v10
	v_sub_f16_e32 v9, v10, v11
	s_and_saveexec_b64 s[4:5], s[0:1]
	s_xor_b64 s[4:5], exec, s[4:5]
	s_cbranch_execz .LBB0_14
; %bb.13:
	v_mov_b32_e32 v1, 0
	v_lshlrev_b64 v[4:5], 2, v[0:1]
	v_mov_b32_e32 v8, s9
	v_add_co_u32_e64 v4, s[0:1], s8, v4
	v_addc_co_u32_e64 v5, s[0:1], v8, v5, s[0:1]
	global_load_dword v4, v[4:5], off offset:308
	ds_read_u16 v5, v7 offset:354
	ds_read_u16 v8, v15 offset:2
	v_add_f16_e32 v9, v11, v10
	v_sub_f16_e32 v10, v10, v11
	s_waitcnt lgkmcnt(0)
	v_add_f16_e32 v11, v5, v8
	v_sub_f16_e32 v5, v8, v5
	s_waitcnt vmcnt(0)
	v_lshrrev_b32_e32 v8, 16, v4
	v_fma_f16 v12, v10, v8, v9
	v_fma_f16 v13, v11, v8, v5
	v_fma_f16 v16, -v10, v8, v9
	v_fma_f16 v5, v11, v8, -v5
	v_fma_f16 v8, -v4, v11, v12
	v_fma_f16 v9, v10, v4, v13
	v_fma_f16 v11, v4, v11, v16
	;; [unrolled: 1-line block ×3, first 2 shown]
	v_pack_b32_f16 v4, v11, v4
	ds_write_b32 v7, v4 offset:352
	v_mov_b32_e32 v5, v1
	v_mov_b32_e32 v4, v0
.LBB0_14:
	s_andn2_saveexec_b64 s[0:1], s[4:5]
	s_cbranch_execz .LBB0_16
; %bb.15:
	ds_read_b32 v1, v14 offset:176
	s_mov_b32 s4, 0xc0004000
	v_mov_b32_e32 v4, 0
	v_mov_b32_e32 v5, 0
	s_waitcnt lgkmcnt(0)
	v_pk_mul_f16 v1, v1, s4
	ds_write_b32 v14, v1 offset:176
.LBB0_16:
	s_or_b64 exec, exec, s[0:1]
	s_add_u32 s0, s8, 0x134
	v_lshlrev_b64 v[4:5], 2, v[4:5]
	s_addc_u32 s1, s9, 0
	v_mov_b32_e32 v1, s1
	v_add_co_u32_e64 v4, s[0:1], s0, v4
	v_addc_co_u32_e64 v5, s[0:1], v1, v5, s[0:1]
	global_load_dword v1, v[4:5], off offset:44
	global_load_dword v10, v[4:5], off offset:88
	;; [unrolled: 1-line block ×3, first 2 shown]
	s_mov_b32 s0, 0x5040100
	v_perm_b32 v4, v9, v8, s0
	ds_write_b32 v15, v4
	ds_read_b32 v4, v15 offset:44
	ds_read_b32 v5, v7 offset:308
	v_lshl_add_u32 v18, v0, 2, 0
	v_cmp_gt_u32_e64 s[0:1], 8, v0
	s_waitcnt lgkmcnt(0)
	v_add_f16_e32 v8, v4, v5
	v_add_f16_sdwa v9, v5, v4 dst_sel:DWORD dst_unused:UNUSED_PAD src0_sel:WORD_1 src1_sel:WORD_1
	v_sub_f16_e32 v12, v4, v5
	v_sub_f16_sdwa v4, v4, v5 dst_sel:DWORD dst_unused:UNUSED_PAD src0_sel:WORD_1 src1_sel:WORD_1
	s_waitcnt vmcnt(2)
	v_lshrrev_b32_e32 v5, 16, v1
	v_fma_f16 v13, v12, v5, v8
	v_fma_f16 v16, v9, v5, v4
	v_fma_f16 v8, -v12, v5, v8
	v_fma_f16 v4, v9, v5, -v4
	v_fma_f16 v5, -v1, v9, v13
	v_fma_f16 v13, v12, v1, v16
	v_fma_f16 v8, v1, v9, v8
	;; [unrolled: 1-line block ×3, first 2 shown]
	v_pack_b32_f16 v4, v5, v13
	v_pack_b32_f16 v1, v8, v1
	ds_write_b32 v15, v4 offset:44
	ds_write_b32 v7, v1 offset:308
	ds_read_b32 v1, v15 offset:88
	ds_read_b32 v4, v7 offset:264
	s_waitcnt vmcnt(1)
	v_lshrrev_b32_e32 v5, 16, v10
	s_waitcnt lgkmcnt(0)
	v_add_f16_e32 v8, v1, v4
	v_add_f16_sdwa v9, v4, v1 dst_sel:DWORD dst_unused:UNUSED_PAD src0_sel:WORD_1 src1_sel:WORD_1
	v_sub_f16_e32 v12, v1, v4
	v_sub_f16_sdwa v1, v1, v4 dst_sel:DWORD dst_unused:UNUSED_PAD src0_sel:WORD_1 src1_sel:WORD_1
	v_fma_f16 v4, v12, v5, v8
	v_fma_f16 v13, v9, v5, v1
	v_fma_f16 v8, -v12, v5, v8
	v_fma_f16 v1, v9, v5, -v1
	v_fma_f16 v4, -v10, v9, v4
	v_fma_f16 v5, v12, v10, v13
	v_fma_f16 v8, v10, v9, v8
	;; [unrolled: 1-line block ×3, first 2 shown]
	v_pack_b32_f16 v4, v4, v5
	v_pack_b32_f16 v1, v8, v1
	ds_write_b32 v15, v4 offset:88
	ds_write_b32 v7, v1 offset:264
	ds_read_b32 v4, v15 offset:132
	ds_read_b32 v5, v7 offset:220
	v_lshl_add_u32 v1, v6, 2, v18
	s_waitcnt vmcnt(0)
	v_lshrrev_b32_e32 v6, 16, v11
	s_waitcnt lgkmcnt(0)
	v_add_f16_e32 v8, v4, v5
	v_add_f16_sdwa v9, v5, v4 dst_sel:DWORD dst_unused:UNUSED_PAD src0_sel:WORD_1 src1_sel:WORD_1
	v_sub_f16_e32 v10, v4, v5
	v_sub_f16_sdwa v4, v4, v5 dst_sel:DWORD dst_unused:UNUSED_PAD src0_sel:WORD_1 src1_sel:WORD_1
	v_fma_f16 v5, v10, v6, v8
	v_fma_f16 v12, v9, v6, v4
	v_fma_f16 v8, -v10, v6, v8
	v_fma_f16 v4, v9, v6, -v4
	v_fma_f16 v5, -v11, v9, v5
	v_fma_f16 v6, v10, v11, v12
	v_fma_f16 v8, v11, v9, v8
	;; [unrolled: 1-line block ×3, first 2 shown]
	v_pack_b32_f16 v5, v5, v6
	v_pack_b32_f16 v4, v8, v4
	ds_write_b32 v15, v5 offset:132
	ds_write_b32 v7, v4 offset:220
	s_waitcnt lgkmcnt(0)
	s_barrier
	s_barrier
	ds_read_b32 v16, v15
	ds_read2_b32 v[10:11], v1 offset0:8 offset1:16
	ds_read2_b32 v[6:7], v1 offset0:24 offset1:32
	ds_read2_b32 v[4:5], v1 offset0:40 offset1:48
	ds_read2_b32 v[8:9], v1 offset0:56 offset1:64
	ds_read2_b32 v[12:13], v1 offset0:72 offset1:80
	s_waitcnt lgkmcnt(0)
	s_barrier
	s_and_saveexec_b64 s[4:5], s[0:1]
	s_cbranch_execz .LBB0_18
; %bb.17:
	v_pk_add_f16 v19, v16, v10
	v_mul_u32_u24_e32 v20, 40, v0
	v_add3_u32 v17, v18, v20, v17
	v_pk_add_f16 v18, v19, v11
	v_pk_add_f16 v18, v18, v6
	;; [unrolled: 1-line block ×9, first 2 shown]
	v_pk_add_f16 v18, v10, v13 neg_lo:[0,1] neg_hi:[0,1]
	v_pk_add_f16 v13, v13, v10
	v_mul_f16_e32 v20, 0xba0c, v18
	v_lshrrev_b32_e32 v23, 16, v13
	s_mov_b32 s1, 0xb93d
	v_fma_f16 v10, v23, s1, v20
	v_add_f16_sdwa v19, v16, v10 dst_sel:DWORD dst_unused:UNUSED_PAD src0_sel:WORD_1 src1_sel:DWORD
	v_pk_add_f16 v10, v11, v12 neg_lo:[0,1] neg_hi:[0,1]
	v_pk_add_f16 v12, v12, v11
	v_mul_f16_e32 v21, 0x3beb, v10
	v_lshrrev_b32_e32 v24, 16, v12
	s_mov_b32 s7, 0xb08e
	v_fma_f16 v11, v24, s7, v21
	v_add_f16_e32 v19, v11, v19
	v_pk_add_f16 v11, v6, v9 neg_lo:[0,1] neg_hi:[0,1]
	v_pk_add_f16 v9, v9, v6
	v_mul_f16_e32 v25, 0xb853, v11
	v_lshrrev_b32_e32 v26, 16, v9
	s_movk_i32 s11, 0x3abb
	v_fma_f16 v6, v26, s11, v25
	v_add_f16_e32 v19, v6, v19
	v_pk_add_f16 v6, v7, v8 neg_lo:[0,1] neg_hi:[0,1]
	v_pk_add_f16 v8, v8, v7
	v_mul_f16_e32 v27, 0xb482, v6
	v_lshrrev_b32_e32 v28, 16, v8
	s_mov_b32 s12, 0xbbad
	v_fma_f16 v7, v28, s12, v27
	v_add_f16_e32 v29, v7, v19
	v_pk_add_f16 v7, v4, v5 neg_lo:[0,1] neg_hi:[0,1]
	v_pk_add_f16 v19, v5, v4
	v_mul_f16_e32 v30, 0x3b47, v7
	v_lshrrev_b32_e32 v31, 16, v19
	s_movk_i32 s13, 0x36a6
	v_fma_f16 v20, v23, s1, -v20
	s_mov_b32 s0, 0xba0c
	v_fma_f16 v4, v31, s13, v30
	v_add_f16_sdwa v20, v16, v20 dst_sel:DWORD dst_unused:UNUSED_PAD src0_sel:WORD_1 src1_sel:DWORD
	v_fma_f16 v21, v24, s7, -v21
	s_movk_i32 s16, 0x3beb
	v_add_f16_e32 v4, v4, v29
	v_mul_f16_sdwa v29, v18, s0 dst_sel:DWORD dst_unused:UNUSED_PAD src0_sel:WORD_1 src1_sel:DWORD
	v_add_f16_e32 v20, v21, v20
	v_fma_f16 v21, v26, s11, -v25
	v_fma_f16 v5, v13, s1, -v29
	v_mul_f16_sdwa v32, v10, s16 dst_sel:DWORD dst_unused:UNUSED_PAD src0_sel:WORD_1 src1_sel:DWORD
	v_add_f16_e32 v20, v21, v20
	v_fma_f16 v21, v28, s12, -v27
	s_mov_b32 s17, 0xb853
	v_add_f16_e32 v5, v16, v5
	v_fma_f16 v33, v12, s7, -v32
	v_add_f16_e32 v20, v21, v20
	v_fma_f16 v21, v31, s13, -v30
	v_add_f16_e32 v5, v33, v5
	v_mul_f16_sdwa v33, v11, s17 dst_sel:DWORD dst_unused:UNUSED_PAD src0_sel:WORD_1 src1_sel:DWORD
	v_add_f16_e32 v20, v21, v20
	v_fma_f16 v21, v13, s1, v29
	s_mov_b32 s18, 0xbb47
	v_pk_mul_f16 v27, v18, s17 op_sel_hi:[1,0]
	s_mov_b32 s10, 0xb482
	v_fma_f16 v34, v9, s11, -v33
	v_add_f16_e32 v21, v16, v21
	v_fma_f16 v25, v12, s7, v32
	v_pk_fma_f16 v29, v13, s11, v27 op_sel:[0,0,1] op_sel_hi:[1,0,0]
	v_pk_fma_f16 v27, v13, s11, v27 op_sel:[0,0,1] op_sel_hi:[1,0,0] neg_lo:[0,0,1] neg_hi:[0,0,1]
	s_mov_b32 s15, 0xffff
	v_pk_mul_f16 v32, v10, s18 op_sel_hi:[1,0]
	v_add_f16_e32 v5, v34, v5
	v_mul_f16_sdwa v34, v6, s10 dst_sel:DWORD dst_unused:UNUSED_PAD src0_sel:WORD_1 src1_sel:DWORD
	v_add_f16_e32 v21, v25, v21
	v_fma_f16 v25, v9, s11, v33
	v_bfi_b32 v30, s15, v29, v27
	v_pk_fma_f16 v33, v12, s13, v32 op_sel:[0,0,1] op_sel_hi:[1,0,0]
	v_pk_fma_f16 v32, v12, s13, v32 op_sel:[0,0,1] op_sel_hi:[1,0,0] neg_lo:[0,0,1] neg_hi:[0,0,1]
	s_movk_i32 s6, 0x3b47
	v_fma_f16 v35, v8, s12, -v34
	v_add_f16_e32 v21, v25, v21
	v_fma_f16 v25, v8, s12, v34
	s_mov_b32 s14, 0xbbeb
	v_pk_add_f16 v30, v16, v30
	v_bfi_b32 v34, s15, v33, v32
	v_add_f16_e32 v5, v35, v5
	v_mul_f16_sdwa v35, v7, s6 dst_sel:DWORD dst_unused:UNUSED_PAD src0_sel:WORD_1 src1_sel:DWORD
	v_pk_add_f16 v30, v34, v30
	v_pk_mul_f16 v34, v11, s14 op_sel_hi:[1,0]
	v_fma_f16 v36, v19, s13, -v35
	v_add_f16_e32 v21, v25, v21
	v_fma_f16 v25, v19, s13, v35
	v_pk_fma_f16 v35, v9, s7, v34 op_sel:[0,0,1] op_sel_hi:[1,0,0]
	v_pk_fma_f16 v34, v9, s7, v34 op_sel:[0,0,1] op_sel_hi:[1,0,0] neg_lo:[0,0,1] neg_hi:[0,0,1]
	v_add_f16_e32 v5, v36, v5
	v_bfi_b32 v36, s15, v35, v34
	v_pk_add_f16 v30, v36, v30
	v_pk_mul_f16 v36, v6, s0 op_sel_hi:[1,0]
	v_pk_fma_f16 v37, v8, s1, v36 op_sel:[0,0,1] op_sel_hi:[1,0,0]
	v_pk_fma_f16 v36, v8, s1, v36 op_sel:[0,0,1] op_sel_hi:[1,0,0] neg_lo:[0,0,1] neg_hi:[0,0,1]
	v_bfi_b32 v38, s15, v37, v36
	v_pk_add_f16 v30, v38, v30
	v_pk_mul_f16 v38, v7, s10 op_sel_hi:[1,0]
	v_pk_fma_f16 v39, v19, s12, v38 op_sel:[0,0,1] op_sel_hi:[1,0,0]
	v_pk_fma_f16 v38, v19, s12, v38 op_sel:[0,0,1] op_sel_hi:[1,0,0] neg_lo:[0,0,1] neg_hi:[0,0,1]
	v_bfi_b32 v40, s15, v39, v38
	v_add_f16_e32 v21, v25, v21
	v_mul_f16_e32 v25, 0xb08e, v23
	v_pk_add_f16 v30, v40, v30
	v_fma_f16 v40, v18, s16, v25
	ds_write2_b32 v17, v22, v30 offset1:1
	v_mul_f16_e32 v22, 0xbbad, v24
	v_add_f16_sdwa v40, v16, v40 dst_sel:DWORD dst_unused:UNUSED_PAD src0_sel:WORD_1 src1_sel:DWORD
	v_fma_f16 v30, v10, s10, v22
	v_add_f16_e32 v30, v30, v40
	v_mul_f16_e32 v40, 0x36a6, v26
	v_fma_f16 v41, v11, s18, v40
	v_add_f16_e32 v30, v41, v30
	s_movk_i32 s19, 0x3853
	v_mul_f16_e32 v41, 0x3abb, v28
	v_fma_f16 v42, v6, s19, v41
	v_add_f16_e32 v30, v42, v30
	s_movk_i32 s20, 0x3a0c
	v_mul_f16_e32 v42, 0xb93d, v31
	v_fma_f16 v43, v7, s20, v42
	v_add_f16_e32 v30, v43, v30
	v_mul_f16_sdwa v43, v18, s14 dst_sel:DWORD dst_unused:UNUSED_PAD src0_sel:WORD_1 src1_sel:DWORD
	s_movk_i32 s21, 0x3482
	v_fma_f16 v44, v13, s7, v43
	v_mul_f16_sdwa v45, v10, s21 dst_sel:DWORD dst_unused:UNUSED_PAD src0_sel:WORD_1 src1_sel:DWORD
	v_add_f16_e32 v44, v16, v44
	v_fma_f16 v46, v12, s12, v45
	v_add_f16_e32 v44, v46, v44
	v_mul_f16_sdwa v46, v11, s6 dst_sel:DWORD dst_unused:UNUSED_PAD src0_sel:WORD_1 src1_sel:DWORD
	v_fma_f16 v47, v9, s13, v46
	v_add_f16_e32 v44, v47, v44
	v_mul_f16_sdwa v47, v6, s17 dst_sel:DWORD dst_unused:UNUSED_PAD src0_sel:WORD_1 src1_sel:DWORD
	;; [unrolled: 3-line block ×3, first 2 shown]
	v_fma_f16 v49, v19, s1, v48
	v_mul_f16_e32 v23, 0x36a6, v23
	v_add_f16_e32 v44, v49, v44
	v_fma_f16 v49, v18, s6, v23
	v_mul_f16_e32 v24, 0xb93d, v24
	v_add_f16_sdwa v49, v16, v49 dst_sel:DWORD dst_unused:UNUSED_PAD src0_sel:WORD_1 src1_sel:DWORD
	v_fma_f16 v50, v10, s20, v24
	v_mul_f16_e32 v26, 0xbbad, v26
	v_add_f16_e32 v49, v50, v49
	v_fma_f16 v50, v11, s10, v26
	v_mul_f16_e32 v28, 0xb08e, v28
	v_add_f16_e32 v49, v50, v49
	;; [unrolled: 3-line block ×3, first 2 shown]
	v_fma_f16 v50, v7, s17, v31
	v_add_f16_e32 v49, v50, v49
	v_mul_f16_sdwa v50, v18, s18 dst_sel:DWORD dst_unused:UNUSED_PAD src0_sel:WORD_1 src1_sel:DWORD
	v_fma_f16 v23, v18, s18, v23
	v_fma_f16 v51, v13, s13, v50
	v_mul_f16_sdwa v52, v10, s0 dst_sel:DWORD dst_unused:UNUSED_PAD src0_sel:WORD_1 src1_sel:DWORD
	v_add_f16_sdwa v23, v16, v23 dst_sel:DWORD dst_unused:UNUSED_PAD src0_sel:WORD_1 src1_sel:DWORD
	v_fma_f16 v24, v10, s0, v24
	v_add_f16_e32 v51, v16, v51
	v_fma_f16 v53, v12, s1, v52
	v_add_f16_e32 v23, v24, v23
	;; [unrolled: 2-line block ×3, first 2 shown]
	v_mul_f16_sdwa v53, v11, s21 dst_sel:DWORD dst_unused:UNUSED_PAD src0_sel:WORD_1 src1_sel:DWORD
	v_add_f16_e32 v23, v24, v23
	v_fma_f16 v24, v6, s16, v28
	v_fma_f16 v54, v9, s12, v53
	;; [unrolled: 1-line block ×3, first 2 shown]
	v_add_f16_e32 v23, v24, v23
	v_fma_f16 v24, v7, s19, v31
	v_add_f16_e32 v51, v54, v51
	v_mul_f16_sdwa v54, v6, s16 dst_sel:DWORD dst_unused:UNUSED_PAD src0_sel:WORD_1 src1_sel:DWORD
	v_add_f16_sdwa v25, v16, v25 dst_sel:DWORD dst_unused:UNUSED_PAD src0_sel:WORD_1 src1_sel:DWORD
	v_fma_f16 v22, v10, s21, v22
	v_add_f16_e32 v23, v24, v23
	v_fma_f16 v24, v13, s13, -v50
	v_fma_f16 v55, v8, s7, v54
	v_add_f16_e32 v22, v22, v25
	v_fma_f16 v25, v11, s6, v40
	v_add_f16_e32 v24, v16, v24
	v_fma_f16 v26, v12, s1, -v52
	v_add_f16_e32 v51, v55, v51
	v_mul_f16_sdwa v55, v7, s19 dst_sel:DWORD dst_unused:UNUSED_PAD src0_sel:WORD_1 src1_sel:DWORD
	v_add_f16_e32 v22, v25, v22
	v_fma_f16 v25, v6, s17, v41
	v_add_f16_e32 v24, v26, v24
	v_fma_f16 v26, v9, s12, -v53
	v_fma_f16 v56, v19, s11, v55
	v_add_f16_e32 v22, v25, v22
	v_fma_f16 v25, v7, s0, v42
	v_add_f16_e32 v24, v26, v24
	v_fma_f16 v26, v8, s7, -v54
	v_add_f16_e32 v51, v56, v51
	v_add_f16_e32 v22, v25, v22
	v_fma_f16 v25, v13, s7, -v43
	v_add_f16_e32 v24, v26, v24
	v_fma_f16 v26, v19, s11, -v55
	v_pack_b32_f16 v20, v21, v20
	v_pk_mul_f16 v13, v13, s12 op_sel_hi:[1,0]
	v_add_f16_e32 v25, v16, v25
	v_fma_f16 v40, v12, s12, -v45
	v_add_f16_e32 v24, v26, v24
	v_pack_b32_f16 v26, v44, v30
	v_pack_b32_f16 v28, v51, v49
	ds_write_b32 v17, v20 offset:16
	v_pk_fma_f16 v20, v18, s10, v13 op_sel:[0,0,1] op_sel_hi:[1,0,0]
	v_pk_mul_f16 v12, v12, s11 op_sel_hi:[1,0]
	v_pk_fma_f16 v13, v18, s10, v13 op_sel:[0,0,1] op_sel_hi:[1,0,0] neg_lo:[1,0,0] neg_hi:[1,0,0]
	v_add_f16_e32 v25, v40, v25
	v_fma_f16 v40, v9, s13, -v46
	ds_write2_b32 v17, v28, v26 offset0:2 offset1:3
	v_pk_fma_f16 v26, v10, s19, v12 op_sel:[0,0,1] op_sel_hi:[1,0,0]
	v_pk_mul_f16 v9, v9, s1 op_sel_hi:[1,0]
	v_pk_add_f16 v13, v16, v13 op_sel:[1,0] op_sel_hi:[0,1]
	v_pk_fma_f16 v10, v10, s19, v12 op_sel:[0,0,1] op_sel_hi:[1,0,0] neg_lo:[1,0,0] neg_hi:[1,0,0]
	v_add_f16_e32 v25, v40, v25
	v_fma_f16 v40, v8, s11, -v47
	v_pk_fma_f16 v28, v11, s0, v9 op_sel:[0,0,1] op_sel_hi:[1,0,0]
	v_pk_mul_f16 v8, v8, s13 op_sel_hi:[1,0]
	v_pk_add_f16 v10, v10, v13
	v_pk_fma_f16 v9, v11, s0, v9 op_sel:[0,0,1] op_sel_hi:[1,0,0] neg_lo:[1,0,0] neg_hi:[1,0,0]
	v_add_f16_e32 v25, v40, v25
	v_fma_f16 v40, v19, s1, -v48
	v_pk_fma_f16 v30, v6, s6, v8 op_sel:[0,0,1] op_sel_hi:[1,0,0]
	v_pk_mul_f16 v19, v19, s7 op_sel_hi:[1,0]
	v_pk_add_f16 v9, v9, v10
	v_pk_fma_f16 v6, v6, s6, v8 op_sel:[0,0,1] op_sel_hi:[1,0,0] neg_lo:[1,0,0] neg_hi:[1,0,0]
	v_pk_fma_f16 v31, v7, s14, v19 op_sel:[0,0,1] op_sel_hi:[1,0,0]
	v_pk_add_f16 v6, v6, v9
	v_pk_fma_f16 v7, v7, s14, v19 op_sel:[0,0,1] op_sel_hi:[1,0,0] neg_lo:[1,0,0] neg_hi:[1,0,0]
	v_alignbit_b32 v21, s0, v16, 16
	v_pk_add_f16 v6, v7, v6
	v_alignbit_b32 v7, s0, v20, 16
	v_pk_add_f16 v21, v21, v20
	v_pk_add_f16 v7, v16, v7
	v_alignbit_b32 v8, s0, v26, 16
	v_pk_add_f16 v21, v26, v21
	;; [unrolled: 3-line block ×5, first 2 shown]
	v_pk_add_f16 v7, v8, v7
	v_add_f16_e32 v25, v40, v25
	v_alignbit_b32 v8, v21, v6, 16
	v_pack_b32_f16 v6, v7, v6
	ds_write2_b32 v17, v6, v8 offset0:5 offset1:6
	v_pack_b32_f16 v6, v25, v22
	v_pack_b32_f16 v4, v5, v4
	ds_write2_b32 v17, v4, v6 offset0:7 offset1:8
	v_bfi_b32 v4, s15, v27, v29
	v_pk_add_f16 v4, v16, v4
	v_bfi_b32 v5, s15, v32, v33
	v_pk_add_f16 v4, v5, v4
	;; [unrolled: 2-line block ×5, first 2 shown]
	v_pack_b32_f16 v5, v24, v23
	ds_write2_b32 v17, v5, v4 offset0:9 offset1:10
.LBB0_18:
	s_or_b64 exec, exec, s[4:5]
	v_mul_u32_u24_e32 v4, 7, v0
	v_lshlrev_b32_e32 v11, 2, v4
	s_waitcnt lgkmcnt(0)
	s_barrier
	global_load_dwordx4 v[4:7], v11, s[8:9]
	global_load_dwordx3 v[8:10], v11, s[8:9] offset:16
	ds_read2_b32 v[11:12], v1 offset0:11 offset1:22
	ds_read_b32 v13, v15
	ds_read_u16 v19, v1 offset:266
	ds_read_b32 v20, v1 offset:308
	ds_read2_b32 v[15:16], v1 offset0:33 offset1:44
	ds_read2_b32 v[17:18], v1 offset0:55 offset1:66
	s_waitcnt lgkmcnt(5)
	v_lshrrev_b32_e32 v22, 16, v11
	v_lshrrev_b32_e32 v23, 16, v12
	s_waitcnt lgkmcnt(2)
	v_lshrrev_b32_e32 v21, 16, v20
	s_waitcnt lgkmcnt(1)
	v_lshrrev_b32_e32 v24, 16, v15
	v_lshrrev_b32_e32 v25, 16, v16
	s_waitcnt lgkmcnt(0)
	v_lshrrev_b32_e32 v26, 16, v17
	v_lshrrev_b32_e32 v27, 16, v13
	s_mov_b32 s0, 0xb9a8
	s_movk_i32 s1, 0x39a8
	s_waitcnt vmcnt(0)
	s_barrier
	v_mul_f16_sdwa v28, v4, v22 dst_sel:DWORD dst_unused:UNUSED_PAD src0_sel:WORD_1 src1_sel:DWORD
	v_mul_f16_sdwa v29, v4, v11 dst_sel:DWORD dst_unused:UNUSED_PAD src0_sel:WORD_1 src1_sel:DWORD
	;; [unrolled: 1-line block ×10, first 2 shown]
	v_mul_f16_sdwa v38, v19, v9 dst_sel:DWORD dst_unused:UNUSED_PAD src0_sel:DWORD src1_sel:WORD_1
	v_mul_f16_sdwa v39, v9, v18 dst_sel:DWORD dst_unused:UNUSED_PAD src0_sel:WORD_1 src1_sel:DWORD
	v_mul_f16_sdwa v40, v21, v10 dst_sel:DWORD dst_unused:UNUSED_PAD src0_sel:DWORD src1_sel:WORD_1
	v_mul_f16_sdwa v41, v20, v10 dst_sel:DWORD dst_unused:UNUSED_PAD src0_sel:DWORD src1_sel:WORD_1
	v_fma_f16 v11, v4, v11, v28
	v_fma_f16 v4, v4, v22, -v29
	v_fma_f16 v12, v5, v12, v30
	v_fma_f16 v5, v5, v23, -v31
	;; [unrolled: 2-line block ×7, first 2 shown]
	v_sub_f16_e32 v16, v13, v16
	v_sub_f16_e32 v7, v27, v7
	;; [unrolled: 1-line block ×8, first 2 shown]
	v_fma_f16 v13, v13, 2.0, -v16
	v_fma_f16 v20, v27, 2.0, -v7
	;; [unrolled: 1-line block ×8, first 2 shown]
	v_add_f16_e32 v9, v16, v9
	v_sub_f16_e32 v18, v7, v18
	v_add_f16_e32 v10, v17, v10
	v_sub_f16_e32 v19, v8, v19
	v_sub_f16_e32 v12, v13, v12
	;; [unrolled: 1-line block ×3, first 2 shown]
	v_fma_f16 v16, v16, 2.0, -v9
	v_fma_f16 v7, v7, 2.0, -v18
	v_sub_f16_e32 v15, v11, v15
	v_sub_f16_e32 v6, v4, v6
	v_fma_f16 v17, v17, 2.0, -v10
	v_fma_f16 v8, v8, 2.0, -v19
	;; [unrolled: 1-line block ×6, first 2 shown]
	v_fma_f16 v21, v17, s0, v16
	v_fma_f16 v22, v8, s0, v7
	v_sub_f16_e32 v11, v13, v11
	v_sub_f16_e32 v4, v20, v4
	v_fma_f16 v8, v8, s1, v21
	v_fma_f16 v17, v17, s0, v22
	;; [unrolled: 1-line block ×4, first 2 shown]
	v_fma_f16 v13, v13, 2.0, -v11
	v_fma_f16 v20, v20, 2.0, -v4
	;; [unrolled: 1-line block ×4, first 2 shown]
	v_add_f16_e32 v6, v12, v6
	v_sub_f16_e32 v15, v5, v15
	v_fma_f16 v19, v19, s1, v21
	v_fma_f16 v10, v10, s0, v22
	v_fma_f16 v12, v12, 2.0, -v6
	v_fma_f16 v5, v5, 2.0, -v15
	;; [unrolled: 1-line block ×4, first 2 shown]
	v_pack_b32_f16 v13, v13, v20
	v_pack_b32_f16 v7, v16, v7
	ds_write2_b32 v1, v13, v7 offset1:11
	v_pack_b32_f16 v5, v12, v5
	v_pack_b32_f16 v7, v9, v18
	ds_write2_b32 v1, v5, v7 offset0:22 offset1:33
	v_pack_b32_f16 v4, v11, v4
	v_pack_b32_f16 v5, v8, v17
	ds_write2_b32 v1, v4, v5 offset0:44 offset1:55
	;; [unrolled: 3-line block ×3, first 2 shown]
	s_waitcnt lgkmcnt(0)
	s_barrier
	s_and_saveexec_b64 s[0:1], vcc
	s_cbranch_execz .LBB0_20
; %bb.19:
	v_lshl_add_u32 v6, v0, 2, v14
	v_mov_b32_e32 v4, s3
	v_add_co_u32_e32 v7, vcc, s2, v2
	v_mov_b32_e32 v1, 0
	v_addc_co_u32_e32 v8, vcc, v4, v3, vcc
	ds_read2_b32 v[4:5], v6 offset1:11
	v_lshlrev_b64 v[2:3], 2, v[0:1]
	v_add_co_u32_e32 v2, vcc, v7, v2
	v_addc_co_u32_e32 v3, vcc, v8, v3, vcc
	s_waitcnt lgkmcnt(0)
	global_store_dword v[2:3], v4, off
	v_add_u32_e32 v2, 11, v0
	v_mov_b32_e32 v3, v1
	v_lshlrev_b64 v[2:3], 2, v[2:3]
	v_add_co_u32_e32 v2, vcc, v7, v2
	v_addc_co_u32_e32 v3, vcc, v8, v3, vcc
	global_store_dword v[2:3], v5, off
	v_add_u32_e32 v2, 22, v0
	v_mov_b32_e32 v3, v1
	ds_read2_b32 v[4:5], v6 offset0:22 offset1:33
	v_lshlrev_b64 v[2:3], 2, v[2:3]
	v_add_co_u32_e32 v2, vcc, v7, v2
	v_addc_co_u32_e32 v3, vcc, v8, v3, vcc
	s_waitcnt lgkmcnt(0)
	global_store_dword v[2:3], v4, off
	v_add_u32_e32 v2, 33, v0
	v_mov_b32_e32 v3, v1
	v_lshlrev_b64 v[2:3], 2, v[2:3]
	v_add_co_u32_e32 v2, vcc, v7, v2
	v_addc_co_u32_e32 v3, vcc, v8, v3, vcc
	global_store_dword v[2:3], v5, off
	v_add_u32_e32 v2, 44, v0
	v_mov_b32_e32 v3, v1
	ds_read2_b32 v[4:5], v6 offset0:44 offset1:55
	v_lshlrev_b64 v[2:3], 2, v[2:3]
	v_add_co_u32_e32 v2, vcc, v7, v2
	v_addc_co_u32_e32 v3, vcc, v8, v3, vcc
	s_waitcnt lgkmcnt(0)
	global_store_dword v[2:3], v4, off
	v_add_u32_e32 v2, 55, v0
	v_mov_b32_e32 v3, v1
	v_lshlrev_b64 v[2:3], 2, v[2:3]
	v_add_co_u32_e32 v2, vcc, v7, v2
	v_addc_co_u32_e32 v3, vcc, v8, v3, vcc
	global_store_dword v[2:3], v5, off
	v_add_u32_e32 v2, 0x42, v0
	v_mov_b32_e32 v3, v1
	v_lshlrev_b64 v[2:3], 2, v[2:3]
	ds_read2_b32 v[4:5], v6 offset0:66 offset1:77
	v_add_u32_e32 v0, 0x4d, v0
	v_add_co_u32_e32 v2, vcc, v7, v2
	v_lshlrev_b64 v[0:1], 2, v[0:1]
	v_addc_co_u32_e32 v3, vcc, v8, v3, vcc
	v_add_co_u32_e32 v0, vcc, v7, v0
	v_addc_co_u32_e32 v1, vcc, v8, v1, vcc
	s_waitcnt lgkmcnt(0)
	global_store_dword v[2:3], v4, off
	global_store_dword v[0:1], v5, off
.LBB0_20:
	s_endpgm
	.section	.rodata,"a",@progbits
	.p2align	6, 0x0
	.amdhsa_kernel fft_rtc_back_len88_factors_11_8_wgs_121_tpt_11_halfLds_half_ip_CI_unitstride_sbrr_C2R_dirReg
		.amdhsa_group_segment_fixed_size 0
		.amdhsa_private_segment_fixed_size 0
		.amdhsa_kernarg_size 88
		.amdhsa_user_sgpr_count 6
		.amdhsa_user_sgpr_private_segment_buffer 1
		.amdhsa_user_sgpr_dispatch_ptr 0
		.amdhsa_user_sgpr_queue_ptr 0
		.amdhsa_user_sgpr_kernarg_segment_ptr 1
		.amdhsa_user_sgpr_dispatch_id 0
		.amdhsa_user_sgpr_flat_scratch_init 0
		.amdhsa_user_sgpr_private_segment_size 0
		.amdhsa_uses_dynamic_stack 0
		.amdhsa_system_sgpr_private_segment_wavefront_offset 0
		.amdhsa_system_sgpr_workgroup_id_x 1
		.amdhsa_system_sgpr_workgroup_id_y 0
		.amdhsa_system_sgpr_workgroup_id_z 0
		.amdhsa_system_sgpr_workgroup_info 0
		.amdhsa_system_vgpr_workitem_id 0
		.amdhsa_next_free_vgpr 57
		.amdhsa_next_free_sgpr 22
		.amdhsa_reserve_vcc 1
		.amdhsa_reserve_flat_scratch 0
		.amdhsa_float_round_mode_32 0
		.amdhsa_float_round_mode_16_64 0
		.amdhsa_float_denorm_mode_32 3
		.amdhsa_float_denorm_mode_16_64 3
		.amdhsa_dx10_clamp 1
		.amdhsa_ieee_mode 1
		.amdhsa_fp16_overflow 0
		.amdhsa_exception_fp_ieee_invalid_op 0
		.amdhsa_exception_fp_denorm_src 0
		.amdhsa_exception_fp_ieee_div_zero 0
		.amdhsa_exception_fp_ieee_overflow 0
		.amdhsa_exception_fp_ieee_underflow 0
		.amdhsa_exception_fp_ieee_inexact 0
		.amdhsa_exception_int_div_zero 0
	.end_amdhsa_kernel
	.text
.Lfunc_end0:
	.size	fft_rtc_back_len88_factors_11_8_wgs_121_tpt_11_halfLds_half_ip_CI_unitstride_sbrr_C2R_dirReg, .Lfunc_end0-fft_rtc_back_len88_factors_11_8_wgs_121_tpt_11_halfLds_half_ip_CI_unitstride_sbrr_C2R_dirReg
                                        ; -- End function
	.section	.AMDGPU.csdata,"",@progbits
; Kernel info:
; codeLenInByte = 5440
; NumSgprs: 26
; NumVgprs: 57
; ScratchSize: 0
; MemoryBound: 0
; FloatMode: 240
; IeeeMode: 1
; LDSByteSize: 0 bytes/workgroup (compile time only)
; SGPRBlocks: 3
; VGPRBlocks: 14
; NumSGPRsForWavesPerEU: 26
; NumVGPRsForWavesPerEU: 57
; Occupancy: 4
; WaveLimiterHint : 1
; COMPUTE_PGM_RSRC2:SCRATCH_EN: 0
; COMPUTE_PGM_RSRC2:USER_SGPR: 6
; COMPUTE_PGM_RSRC2:TRAP_HANDLER: 0
; COMPUTE_PGM_RSRC2:TGID_X_EN: 1
; COMPUTE_PGM_RSRC2:TGID_Y_EN: 0
; COMPUTE_PGM_RSRC2:TGID_Z_EN: 0
; COMPUTE_PGM_RSRC2:TIDIG_COMP_CNT: 0
	.type	__hip_cuid_3388220e1606e995,@object ; @__hip_cuid_3388220e1606e995
	.section	.bss,"aw",@nobits
	.globl	__hip_cuid_3388220e1606e995
__hip_cuid_3388220e1606e995:
	.byte	0                               ; 0x0
	.size	__hip_cuid_3388220e1606e995, 1

	.ident	"AMD clang version 19.0.0git (https://github.com/RadeonOpenCompute/llvm-project roc-6.4.0 25133 c7fe45cf4b819c5991fe208aaa96edf142730f1d)"
	.section	".note.GNU-stack","",@progbits
	.addrsig
	.addrsig_sym __hip_cuid_3388220e1606e995
	.amdgpu_metadata
---
amdhsa.kernels:
  - .args:
      - .actual_access:  read_only
        .address_space:  global
        .offset:         0
        .size:           8
        .value_kind:     global_buffer
      - .offset:         8
        .size:           8
        .value_kind:     by_value
      - .actual_access:  read_only
        .address_space:  global
        .offset:         16
        .size:           8
        .value_kind:     global_buffer
      - .actual_access:  read_only
        .address_space:  global
        .offset:         24
        .size:           8
        .value_kind:     global_buffer
      - .offset:         32
        .size:           8
        .value_kind:     by_value
      - .actual_access:  read_only
        .address_space:  global
        .offset:         40
        .size:           8
        .value_kind:     global_buffer
      - .actual_access:  read_only
        .address_space:  global
        .offset:         48
        .size:           8
        .value_kind:     global_buffer
      - .offset:         56
        .size:           4
        .value_kind:     by_value
      - .actual_access:  read_only
        .address_space:  global
        .offset:         64
        .size:           8
        .value_kind:     global_buffer
      - .actual_access:  read_only
        .address_space:  global
        .offset:         72
        .size:           8
        .value_kind:     global_buffer
      - .address_space:  global
        .offset:         80
        .size:           8
        .value_kind:     global_buffer
    .group_segment_fixed_size: 0
    .kernarg_segment_align: 8
    .kernarg_segment_size: 88
    .language:       OpenCL C
    .language_version:
      - 2
      - 0
    .max_flat_workgroup_size: 121
    .name:           fft_rtc_back_len88_factors_11_8_wgs_121_tpt_11_halfLds_half_ip_CI_unitstride_sbrr_C2R_dirReg
    .private_segment_fixed_size: 0
    .sgpr_count:     26
    .sgpr_spill_count: 0
    .symbol:         fft_rtc_back_len88_factors_11_8_wgs_121_tpt_11_halfLds_half_ip_CI_unitstride_sbrr_C2R_dirReg.kd
    .uniform_work_group_size: 1
    .uses_dynamic_stack: false
    .vgpr_count:     57
    .vgpr_spill_count: 0
    .wavefront_size: 64
amdhsa.target:   amdgcn-amd-amdhsa--gfx906
amdhsa.version:
  - 1
  - 2
...

	.end_amdgpu_metadata
